;; amdgpu-corpus repo=zjin-lcf/HeCBench kind=compiled arch=gfx1250 opt=O3
	.amdgcn_target "amdgcn-amd-amdhsa--gfx1250"
	.amdhsa_code_object_version 6
	.text
	.protected	_Z13k_cube_selectiiiPKiPi ; -- Begin function _Z13k_cube_selectiiiPKiPi
	.globl	_Z13k_cube_selectiiiPKiPi
	.p2align	8
	.type	_Z13k_cube_selectiiiPKiPi,@function
_Z13k_cube_selectiiiPKiPi:              ; @_Z13k_cube_selectiiiPKiPi
; %bb.0:
	s_load_b64 s[8:9], s[0:1], 0x4
	s_mov_b32 s2, exec_lo
	s_wait_kmcnt 0x0
	v_cmpx_gt_i32_e64 s8, v0
	s_cbranch_execz .LBB0_11
; %bb.1:
	s_clause 0x1
	s_load_b128 s[4:7], s[0:1], 0x10
	s_load_b32 s10, s[0:1], 0x2c
	s_bfe_u32 s2, ttmp6, 0x4000c
	s_wait_xcnt 0x0
	s_and_b32 s0, ttmp6, 15
	s_add_co_i32 s2, s2, 1
	v_mov_b32_e32 v15, 0
	s_mul_i32 s1, ttmp9, s2
	s_getreg_b32 s2, hwreg(HW_REG_IB_STS2, 6, 4)
	s_add_co_i32 s0, s0, s1
	s_cmp_eq_u32 s2, 0
	s_mov_b32 s11, 0
	s_cselect_b32 s0, ttmp9, s0
	s_mov_b32 s17, 0
	s_mul_i32 s1, s8, s0
	s_delay_alu instid0(SALU_CYCLE_1)
	s_mul_i32 s0, s1, 3
	s_lshl_b32 s2, s1, 3
	s_ashr_i32 s1, s0, 31
	s_ashr_i32 s3, s2, 31
	s_lshl_b64 s[0:1], s[0:1], 2
	s_lshl_b64 s[2:3], s[2:3], 2
	s_wait_kmcnt 0x0
	s_add_nc_u64 s[12:13], s[4:5], s[0:1]
	s_add_nc_u64 s[14:15], s[6:7], s[2:3]
	s_and_b32 s16, s10, 0xffff
	s_mov_b32 s0, s9
	s_mov_b32 s1, s9
	;; [unrolled: 1-line block ×8, first 2 shown]
	s_branch .LBB0_3
.LBB0_2:                                ;   in Loop: Header=BB0_3 Depth=1
	v_add_nc_u32_e32 v0, s16, v0
	s_delay_alu instid0(VALU_DEP_1) | instskip(SKIP_1) | instid1(SALU_CYCLE_1)
	v_cmp_le_i32_e32 vcc_lo, s8, v0
	s_or_b32 s17, vcc_lo, s17
	s_and_not1_b32 exec_lo, exec_lo, s17
	s_cbranch_execz .LBB0_11
.LBB0_3:                                ; =>This Loop Header: Depth=1
                                        ;     Child Loop BB0_7 Depth 2
	v_lshl_add_u32 v2, v0, 1, v0
	v_mov_b64_e32 v[10:11], s[6:7]
	v_mov_b64_e32 v[8:9], s[4:5]
	;; [unrolled: 1-line block ×4, first 2 shown]
	v_dual_ashrrev_i32 v3, 31, v2 :: v_dual_lshlrev_b32 v20, 3, v0
	s_mov_b32 s10, s11
	s_mov_b32 s18, s11
	v_mov_b32_e32 v1, v0
	s_delay_alu instid0(VALU_DEP_2)
	v_lshl_add_u64 v[2:3], v[2:3], 2, s[12:13]
	v_ashrrev_i32_e32 v21, 31, v20
	s_wait_loadcnt 0x0
	global_load_b96 v[12:14], v[2:3], off
	v_lshl_add_u64 v[16:17], v[20:21], 2, s[14:15]
	s_wait_xcnt 0x0
	v_dual_mov_b32 v2, v0 :: v_dual_mov_b32 v3, v0
	s_clause 0x1
	global_store_b128 v[16:17], v[0:3], off
	global_store_b128 v[16:17], v[0:3], off offset:16
	s_branch .LBB0_7
.LBB0_4:                                ;   in Loop: Header=BB0_7 Depth=2
	s_wait_xcnt 0x0
	s_or_b32 exec_lo, exec_lo, s21
.LBB0_5:                                ;   in Loop: Header=BB0_7 Depth=2
	s_delay_alu instid0(SALU_CYCLE_1)
	s_or_b32 exec_lo, exec_lo, s20
.LBB0_6:                                ;   in Loop: Header=BB0_7 Depth=2
	s_delay_alu instid0(SALU_CYCLE_1)
	s_or_b32 exec_lo, exec_lo, s19
	s_add_co_i32 s18, s18, 1
	s_add_co_i32 s10, s10, 3
	s_cmp_eq_u32 s8, s18
	s_cbranch_scc1 .LBB0_2
.LBB0_7:                                ;   Parent Loop BB0_3 Depth=1
                                        ; =>  This Inner Loop Header: Depth=2
	s_mov_b32 s19, exec_lo
	s_wait_xcnt 0x0
	v_cmpx_ne_u32_e64 s18, v0
	s_cbranch_execz .LBB0_6
; %bb.8:                                ;   in Loop: Header=BB0_7 Depth=2
	s_lshl_b64 s[20:21], s[10:11], 2
	s_delay_alu instid0(SALU_CYCLE_1)
	s_add_nc_u64 s[20:21], s[12:13], s[20:21]
	global_load_b96 v[16:18], v15, s[20:21]
	s_wait_xcnt 0x0
	s_mov_b32 s20, exec_lo
	s_wait_loadcnt 0x0
	v_dual_sub_nc_u32 v1, v12, v16 :: v_dual_sub_nc_u32 v2, v13, v17
	s_delay_alu instid0(VALU_DEP_1) | instskip(NEXT) | instid1(VALU_DEP_1)
	v_mul_lo_u32 v1, v1, v1
	v_mad_u32 v1, v2, v2, v1
	v_sub_nc_u32_e32 v2, v14, v18
	s_delay_alu instid0(VALU_DEP_1) | instskip(NEXT) | instid1(VALU_DEP_1)
	v_mad_u32 v1, v2, v2, v1
	v_cmpx_ge_i32_e64 s9, v1
	s_cbranch_execz .LBB0_5
; %bb.9:                                ;   in Loop: Header=BB0_7 Depth=2
	v_cmp_lt_i32_e32 vcc_lo, v14, v18
	s_mov_b32 s21, exec_lo
	v_cndmask_b32_e64 v2, 0, 1, vcc_lo
	v_cmp_gt_i32_e32 vcc_lo, v16, v12
	v_cndmask_b32_e64 v3, 0, 4, vcc_lo
	v_cmp_gt_i32_e32 vcc_lo, v17, v13
	v_cndmask_b32_e64 v16, 0, 2, vcc_lo
	s_delay_alu instid0(VALU_DEP_1) | instskip(NEXT) | instid1(VALU_DEP_1)
	v_or3_b32 v2, v16, v3, v2
	v_cmp_eq_u32_e32 vcc_lo, 1, v2
	v_cndmask_b32_e32 v3, v4, v5, vcc_lo
	v_cmp_eq_u32_e32 vcc_lo, 2, v2
	s_delay_alu instid0(VALU_DEP_2) | instskip(SKIP_1) | instid1(VALU_DEP_2)
	v_cndmask_b32_e32 v3, v3, v6, vcc_lo
	v_cmp_eq_u32_e32 vcc_lo, 3, v2
	v_cndmask_b32_e32 v3, v3, v7, vcc_lo
	v_cmp_eq_u32_e32 vcc_lo, 4, v2
	s_delay_alu instid0(VALU_DEP_2) | instskip(SKIP_1) | instid1(VALU_DEP_2)
	v_cndmask_b32_e32 v3, v3, v8, vcc_lo
	;; [unrolled: 5-line block ×3, first 2 shown]
	v_cmp_eq_u32_e32 vcc_lo, 7, v2
	v_cndmask_b32_e32 v3, v3, v11, vcc_lo
	s_delay_alu instid0(VALU_DEP_1)
	v_cmpx_lt_i32_e64 v1, v3
	s_cbranch_execz .LBB0_4
; %bb.10:                               ;   in Loop: Header=BB0_7 Depth=2
	v_cmp_eq_u32_e32 vcc_lo, 7, v2
	v_dual_cndmask_b32 v11, v11, v1, vcc_lo :: v_dual_bitop2_b32 v3, v2, v20 bitop3:0x54
	v_cmp_eq_u32_e32 vcc_lo, 6, v2
	v_cndmask_b32_e32 v10, v10, v1, vcc_lo
	v_cmp_eq_u32_e32 vcc_lo, 5, v2
	v_cndmask_b32_e32 v9, v9, v1, vcc_lo
	;; [unrolled: 2-line block ×6, first 2 shown]
	v_cmp_eq_u32_e32 vcc_lo, 0, v2
	v_dual_mov_b32 v16, s18 :: v_dual_cndmask_b32 v4, v4, v1, vcc_lo
	global_store_b32 v3, v16, s[14:15] scale_offset
	s_branch .LBB0_4
.LBB0_11:
	s_endpgm
	.section	.rodata,"a",@progbits
	.p2align	6, 0x0
	.amdhsa_kernel _Z13k_cube_selectiiiPKiPi
		.amdhsa_group_segment_fixed_size 0
		.amdhsa_private_segment_fixed_size 0
		.amdhsa_kernarg_size 288
		.amdhsa_user_sgpr_count 2
		.amdhsa_user_sgpr_dispatch_ptr 0
		.amdhsa_user_sgpr_queue_ptr 0
		.amdhsa_user_sgpr_kernarg_segment_ptr 1
		.amdhsa_user_sgpr_dispatch_id 0
		.amdhsa_user_sgpr_kernarg_preload_length 0
		.amdhsa_user_sgpr_kernarg_preload_offset 0
		.amdhsa_user_sgpr_private_segment_size 0
		.amdhsa_wavefront_size32 1
		.amdhsa_uses_dynamic_stack 0
		.amdhsa_enable_private_segment 0
		.amdhsa_system_sgpr_workgroup_id_x 1
		.amdhsa_system_sgpr_workgroup_id_y 0
		.amdhsa_system_sgpr_workgroup_id_z 0
		.amdhsa_system_sgpr_workgroup_info 0
		.amdhsa_system_vgpr_workitem_id 0
		.amdhsa_next_free_vgpr 22
		.amdhsa_next_free_sgpr 22
		.amdhsa_named_barrier_count 0
		.amdhsa_reserve_vcc 1
		.amdhsa_float_round_mode_32 0
		.amdhsa_float_round_mode_16_64 0
		.amdhsa_float_denorm_mode_32 3
		.amdhsa_float_denorm_mode_16_64 3
		.amdhsa_fp16_overflow 0
		.amdhsa_memory_ordered 1
		.amdhsa_forward_progress 1
		.amdhsa_inst_pref_size 6
		.amdhsa_round_robin_scheduling 0
		.amdhsa_exception_fp_ieee_invalid_op 0
		.amdhsa_exception_fp_denorm_src 0
		.amdhsa_exception_fp_ieee_div_zero 0
		.amdhsa_exception_fp_ieee_overflow 0
		.amdhsa_exception_fp_ieee_underflow 0
		.amdhsa_exception_fp_ieee_inexact 0
		.amdhsa_exception_int_div_zero 0
	.end_amdhsa_kernel
	.text
.Lfunc_end0:
	.size	_Z13k_cube_selectiiiPKiPi, .Lfunc_end0-_Z13k_cube_selectiiiPKiPi
                                        ; -- End function
	.set _Z13k_cube_selectiiiPKiPi.num_vgpr, 22
	.set _Z13k_cube_selectiiiPKiPi.num_agpr, 0
	.set _Z13k_cube_selectiiiPKiPi.numbered_sgpr, 22
	.set _Z13k_cube_selectiiiPKiPi.num_named_barrier, 0
	.set _Z13k_cube_selectiiiPKiPi.private_seg_size, 0
	.set _Z13k_cube_selectiiiPKiPi.uses_vcc, 1
	.set _Z13k_cube_selectiiiPKiPi.uses_flat_scratch, 0
	.set _Z13k_cube_selectiiiPKiPi.has_dyn_sized_stack, 0
	.set _Z13k_cube_selectiiiPKiPi.has_recursion, 0
	.set _Z13k_cube_selectiiiPKiPi.has_indirect_call, 0
	.section	.AMDGPU.csdata,"",@progbits
; Kernel info:
; codeLenInByte = 736
; TotalNumSgprs: 24
; NumVgprs: 22
; ScratchSize: 0
; MemoryBound: 0
; FloatMode: 240
; IeeeMode: 1
; LDSByteSize: 0 bytes/workgroup (compile time only)
; SGPRBlocks: 0
; VGPRBlocks: 1
; NumSGPRsForWavesPerEU: 24
; NumVGPRsForWavesPerEU: 22
; NamedBarCnt: 0
; Occupancy: 16
; WaveLimiterHint : 0
; COMPUTE_PGM_RSRC2:SCRATCH_EN: 0
; COMPUTE_PGM_RSRC2:USER_SGPR: 2
; COMPUTE_PGM_RSRC2:TRAP_HANDLER: 0
; COMPUTE_PGM_RSRC2:TGID_X_EN: 1
; COMPUTE_PGM_RSRC2:TGID_Y_EN: 0
; COMPUTE_PGM_RSRC2:TGID_Z_EN: 0
; COMPUTE_PGM_RSRC2:TIDIG_COMP_CNT: 0
	.text
	.protected	_Z17k_cube_select_twoiiiPKiPi ; -- Begin function _Z17k_cube_select_twoiiiPKiPi
	.globl	_Z17k_cube_select_twoiiiPKiPi
	.p2align	8
	.type	_Z17k_cube_select_twoiiiPKiPi,@function
_Z17k_cube_select_twoiiiPKiPi:          ; @_Z17k_cube_select_twoiiiPKiPi
; %bb.0:
	s_load_b64 s[16:17], s[0:1], 0x4
	s_mov_b32 s2, exec_lo
	s_wait_kmcnt 0x0
	v_cmpx_gt_i32_e64 s16, v0
	s_cbranch_execz .LBB1_15
; %bb.1:
	s_clause 0x1
	s_load_b128 s[4:7], s[0:1], 0x10
	s_load_b32 s8, s[0:1], 0x2c
	s_bfe_u32 s2, ttmp6, 0x4000c
	s_wait_xcnt 0x0
	s_and_b32 s0, ttmp6, 15
	s_add_co_i32 s2, s2, 1
	v_mov_b32_e32 v23, 0
	s_mul_i32 s1, ttmp9, s2
	s_getreg_b32 s2, hwreg(HW_REG_IB_STS2, 6, 4)
	s_add_co_i32 s0, s0, s1
	s_cmp_eq_u32 s2, 0
	s_mov_b32 s19, 0
	s_cselect_b32 s0, ttmp9, s0
	s_mov_b32 s9, s17
	s_mul_i32 s1, s16, s0
	s_mov_b32 s10, s17
	s_mul_i32 s0, s1, 3
	s_lshl_b32 s2, s1, 4
	s_ashr_i32 s1, s0, 31
	s_ashr_i32 s3, s2, 31
	s_lshl_b64 s[0:1], s[0:1], 2
	s_lshl_b64 s[2:3], s[2:3], 2
	s_wait_kmcnt 0x0
	s_add_nc_u64 s[20:21], s[4:5], s[0:1]
	s_add_nc_u64 s[22:23], s[6:7], s[2:3]
	s_and_b32 s24, s8, 0xffff
	s_mov_b32 s0, s17
	s_mov_b32 s1, s17
	;; [unrolled: 1-line block ×15, first 2 shown]
	s_branch .LBB1_3
.LBB1_2:                                ;   in Loop: Header=BB1_3 Depth=1
	v_add_nc_u32_e32 v0, s24, v0
	s_delay_alu instid0(VALU_DEP_1) | instskip(SKIP_1) | instid1(SALU_CYCLE_1)
	v_cmp_le_i32_e32 vcc_lo, s16, v0
	s_or_b32 s25, vcc_lo, s25
	s_and_not1_b32 exec_lo, exec_lo, s25
	s_cbranch_execz .LBB1_15
.LBB1_3:                                ; =>This Loop Header: Depth=1
                                        ;     Child Loop BB1_8 Depth 2
	v_lshl_add_u32 v2, v0, 1, v0
	v_mov_b64_e32 v[18:19], s[14:15]
	v_mov_b64_e32 v[16:17], s[12:13]
	;; [unrolled: 1-line block ×4, first 2 shown]
	v_dual_ashrrev_i32 v3, 31, v2 :: v_dual_lshlrev_b32 v28, 4, v0
	v_mov_b64_e32 v[10:11], s[6:7]
	v_mov_b64_e32 v[8:9], s[4:5]
	v_mov_b64_e32 v[6:7], s[2:3]
	s_delay_alu instid0(VALU_DEP_4)
	v_lshl_add_u64 v[2:3], v[2:3], 2, s[20:21]
	v_dual_ashrrev_i32 v29, 31, v28 :: v_dual_mov_b32 v1, v0
	v_mov_b64_e32 v[4:5], s[0:1]
	s_mov_b32 s18, s19
	s_wait_loadcnt 0x0
	global_load_b96 v[20:22], v[2:3], off
	v_lshl_add_u64 v[24:25], v[28:29], 2, s[22:23]
	s_wait_xcnt 0x0
	v_dual_mov_b32 v2, v0 :: v_dual_mov_b32 v3, v0
	s_mov_b32 s26, s19
	s_clause 0x3
	global_store_b128 v[24:25], v[0:3], off
	global_store_b128 v[24:25], v[0:3], off offset:16
	global_store_b128 v[24:25], v[0:3], off offset:32
	;; [unrolled: 1-line block ×3, first 2 shown]
	s_branch .LBB1_8
.LBB1_4:                                ;   in Loop: Header=BB1_8 Depth=2
	s_wait_xcnt 0x0
	s_or_b32 exec_lo, exec_lo, s31
	v_cmp_eq_u32_e32 vcc_lo, 15, v2
	v_dual_mov_b32 v24, s26 :: v_dual_bitop2_b32 v3, v26, v3 bitop3:0x54
	v_cndmask_b32_e32 v19, v19, v1, vcc_lo
	v_cmp_eq_u32_e32 vcc_lo, 14, v2
	global_store_b32 v3, v24, s[22:23] scale_offset
	v_cndmask_b32_e32 v18, v18, v1, vcc_lo
	v_cmp_eq_u32_e32 vcc_lo, 13, v2
	v_cndmask_b32_e32 v17, v17, v1, vcc_lo
	v_cmp_eq_u32_e32 vcc_lo, 12, v2
	;; [unrolled: 2-line block ×14, first 2 shown]
	v_cndmask_b32_e32 v4, v4, v1, vcc_lo
.LBB1_5:                                ;   in Loop: Header=BB1_8 Depth=2
	s_wait_xcnt 0x0
	s_or_b32 exec_lo, exec_lo, s29
.LBB1_6:                                ;   in Loop: Header=BB1_8 Depth=2
	s_delay_alu instid0(SALU_CYCLE_1)
	s_or_b32 exec_lo, exec_lo, s28
.LBB1_7:                                ;   in Loop: Header=BB1_8 Depth=2
	s_delay_alu instid0(SALU_CYCLE_1)
	s_or_b32 exec_lo, exec_lo, s27
	s_add_co_i32 s26, s26, 1
	s_add_co_i32 s18, s18, 3
	s_cmp_eq_u32 s16, s26
	s_cbranch_scc1 .LBB1_2
.LBB1_8:                                ;   Parent Loop BB1_3 Depth=1
                                        ; =>  This Inner Loop Header: Depth=2
	s_mov_b32 s27, exec_lo
	s_wait_xcnt 0x0
	v_cmpx_ne_u32_e64 s26, v0
	s_cbranch_execz .LBB1_7
; %bb.9:                                ;   in Loop: Header=BB1_8 Depth=2
	s_lshl_b64 s[28:29], s[18:19], 2
	s_delay_alu instid0(SALU_CYCLE_1)
	s_add_nc_u64 s[28:29], s[20:21], s[28:29]
	global_load_b96 v[24:26], v23, s[28:29]
	s_wait_xcnt 0x0
	s_mov_b32 s28, exec_lo
	s_wait_loadcnt 0x0
	v_dual_sub_nc_u32 v1, v20, v24 :: v_dual_sub_nc_u32 v2, v21, v25
	s_delay_alu instid0(VALU_DEP_1) | instskip(NEXT) | instid1(VALU_DEP_1)
	v_mul_lo_u32 v1, v1, v1
	v_mad_u32 v1, v2, v2, v1
	v_sub_nc_u32_e32 v2, v22, v26
	s_delay_alu instid0(VALU_DEP_1) | instskip(NEXT) | instid1(VALU_DEP_1)
	v_mad_u32 v1, v2, v2, v1
	v_cmpx_ge_i32_e64 s17, v1
	s_cbranch_execz .LBB1_6
; %bb.10:                               ;   in Loop: Header=BB1_8 Depth=2
	v_cmp_gt_i32_e32 vcc_lo, v24, v20
	s_mov_b32 s29, exec_lo
	v_cndmask_b32_e64 v2, 0, 8, vcc_lo
	v_cmp_gt_i32_e32 vcc_lo, v25, v21
	v_cndmask_b32_e64 v3, 0, 4, vcc_lo
	v_cmp_lt_i32_e32 vcc_lo, v22, v26
	v_mov_b32_e32 v26, 0
	v_cndmask_b32_e64 v24, 0, 2, vcc_lo
	s_delay_alu instid0(VALU_DEP_1) | instskip(NEXT) | instid1(VALU_DEP_1)
	v_or3_b32 v24, v3, v2, v24
	v_cmp_eq_u32_e32 vcc_lo, 1, v24
	v_cndmask_b32_e32 v2, v4, v5, vcc_lo
	v_cmp_eq_u32_e32 vcc_lo, 2, v24
	s_delay_alu instid0(VALU_DEP_2) | instskip(SKIP_1) | instid1(VALU_DEP_2)
	v_cndmask_b32_e32 v2, v2, v6, vcc_lo
	v_cmp_eq_u32_e32 vcc_lo, 3, v24
	v_cndmask_b32_e32 v2, v2, v7, vcc_lo
	v_cmp_eq_u32_e32 vcc_lo, 4, v24
	s_delay_alu instid0(VALU_DEP_2) | instskip(SKIP_1) | instid1(VALU_DEP_2)
	v_cndmask_b32_e32 v2, v2, v8, vcc_lo
	;; [unrolled: 5-line block ×7, first 2 shown]
	v_cmp_eq_u32_e32 vcc_lo, 15, v24
	v_cndmask_b32_e32 v25, v2, v19, vcc_lo
	s_delay_alu instid0(VALU_DEP_1)
	v_cmp_lt_i32_e64 s30, v1, v25
	v_mov_b64_e32 v[2:3], v[24:25]
	s_mov_b32 s31, s30
	v_cmpx_ge_i32_e64 v1, v25
	s_cbranch_execz .LBB1_12
; %bb.11:                               ;   in Loop: Header=BB1_8 Depth=2
	v_or_b32_e32 v2, 1, v24
	s_and_not1_b32 s31, s30, exec_lo
	v_mov_b32_e32 v26, 1
	s_delay_alu instid0(VALU_DEP_2) | instskip(SKIP_2) | instid1(VALU_DEP_2)
	v_cmp_eq_u32_e32 vcc_lo, 1, v2
	v_cndmask_b32_e32 v3, v4, v5, vcc_lo
	v_cmp_eq_u32_e32 vcc_lo, 2, v2
	v_cndmask_b32_e32 v3, v3, v6, vcc_lo
	v_cmp_eq_u32_e32 vcc_lo, 3, v2
	s_delay_alu instid0(VALU_DEP_2) | instskip(SKIP_1) | instid1(VALU_DEP_2)
	v_cndmask_b32_e32 v3, v3, v7, vcc_lo
	v_cmp_eq_u32_e32 vcc_lo, 4, v2
	v_cndmask_b32_e32 v3, v3, v8, vcc_lo
	v_cmp_eq_u32_e32 vcc_lo, 5, v2
	s_delay_alu instid0(VALU_DEP_2) | instskip(SKIP_1) | instid1(VALU_DEP_2)
	;; [unrolled: 5-line block ×6, first 2 shown]
	v_cndmask_b32_e32 v3, v3, v17, vcc_lo
	v_cmp_eq_u32_e32 vcc_lo, 14, v2
	v_cndmask_b32_e32 v3, v3, v18, vcc_lo
	v_cmp_eq_u32_e32 vcc_lo, 15, v2
	s_delay_alu instid0(VALU_DEP_2) | instskip(NEXT) | instid1(VALU_DEP_1)
	v_cndmask_b32_e32 v3, v3, v19, vcc_lo
	v_cmp_lt_i32_e32 vcc_lo, v1, v3
	s_and_b32 s33, vcc_lo, exec_lo
	s_delay_alu instid0(SALU_CYCLE_1)
	s_or_b32 s31, s31, s33
.LBB1_12:                               ;   in Loop: Header=BB1_8 Depth=2
	s_or_b32 exec_lo, exec_lo, s29
	s_and_saveexec_b32 s29, s31
	s_cbranch_execz .LBB1_5
; %bb.13:                               ;   in Loop: Header=BB1_8 Depth=2
	v_or_b32_e32 v3, v24, v28
	s_and_saveexec_b32 s31, s30
	s_cbranch_execz .LBB1_4
; %bb.14:                               ;   in Loop: Header=BB1_8 Depth=2
	global_load_b32 v27, v3, s[22:23] scale_offset
	v_or_b32_e32 v24, 1, v24
	s_delay_alu instid0(VALU_DEP_1)
	v_cmp_eq_u32_e32 vcc_lo, 15, v24
	v_cndmask_b32_e32 v19, v19, v25, vcc_lo
	v_cmp_eq_u32_e32 vcc_lo, 14, v24
	v_cndmask_b32_e32 v18, v18, v25, vcc_lo
	;; [unrolled: 2-line block ×16, first 2 shown]
	s_wait_loadcnt 0x0
	global_store_b32 v3, v27, s[22:23] offset:4 scale_offset
	s_branch .LBB1_4
.LBB1_15:
	s_endpgm
	.section	.rodata,"a",@progbits
	.p2align	6, 0x0
	.amdhsa_kernel _Z17k_cube_select_twoiiiPKiPi
		.amdhsa_group_segment_fixed_size 0
		.amdhsa_private_segment_fixed_size 0
		.amdhsa_kernarg_size 288
		.amdhsa_user_sgpr_count 2
		.amdhsa_user_sgpr_dispatch_ptr 0
		.amdhsa_user_sgpr_queue_ptr 0
		.amdhsa_user_sgpr_kernarg_segment_ptr 1
		.amdhsa_user_sgpr_dispatch_id 0
		.amdhsa_user_sgpr_kernarg_preload_length 0
		.amdhsa_user_sgpr_kernarg_preload_offset 0
		.amdhsa_user_sgpr_private_segment_size 0
		.amdhsa_wavefront_size32 1
		.amdhsa_uses_dynamic_stack 0
		.amdhsa_enable_private_segment 0
		.amdhsa_system_sgpr_workgroup_id_x 1
		.amdhsa_system_sgpr_workgroup_id_y 0
		.amdhsa_system_sgpr_workgroup_id_z 0
		.amdhsa_system_sgpr_workgroup_info 0
		.amdhsa_system_vgpr_workitem_id 0
		.amdhsa_next_free_vgpr 30
		.amdhsa_next_free_sgpr 34
		.amdhsa_named_barrier_count 0
		.amdhsa_reserve_vcc 1
		.amdhsa_float_round_mode_32 0
		.amdhsa_float_round_mode_16_64 0
		.amdhsa_float_denorm_mode_32 3
		.amdhsa_float_denorm_mode_16_64 3
		.amdhsa_fp16_overflow 0
		.amdhsa_memory_ordered 1
		.amdhsa_forward_progress 1
		.amdhsa_inst_pref_size 11
		.amdhsa_round_robin_scheduling 0
		.amdhsa_exception_fp_ieee_invalid_op 0
		.amdhsa_exception_fp_denorm_src 0
		.amdhsa_exception_fp_ieee_div_zero 0
		.amdhsa_exception_fp_ieee_overflow 0
		.amdhsa_exception_fp_ieee_underflow 0
		.amdhsa_exception_fp_ieee_inexact 0
		.amdhsa_exception_int_div_zero 0
	.end_amdhsa_kernel
	.text
.Lfunc_end1:
	.size	_Z17k_cube_select_twoiiiPKiPi, .Lfunc_end1-_Z17k_cube_select_twoiiiPKiPi
                                        ; -- End function
	.set _Z17k_cube_select_twoiiiPKiPi.num_vgpr, 30
	.set _Z17k_cube_select_twoiiiPKiPi.num_agpr, 0
	.set _Z17k_cube_select_twoiiiPKiPi.numbered_sgpr, 34
	.set _Z17k_cube_select_twoiiiPKiPi.num_named_barrier, 0
	.set _Z17k_cube_select_twoiiiPKiPi.private_seg_size, 0
	.set _Z17k_cube_select_twoiiiPKiPi.uses_vcc, 1
	.set _Z17k_cube_select_twoiiiPKiPi.uses_flat_scratch, 0
	.set _Z17k_cube_select_twoiiiPKiPi.has_dyn_sized_stack, 0
	.set _Z17k_cube_select_twoiiiPKiPi.has_recursion, 0
	.set _Z17k_cube_select_twoiiiPKiPi.has_indirect_call, 0
	.section	.AMDGPU.csdata,"",@progbits
; Kernel info:
; codeLenInByte = 1344
; TotalNumSgprs: 36
; NumVgprs: 30
; ScratchSize: 0
; MemoryBound: 0
; FloatMode: 240
; IeeeMode: 1
; LDSByteSize: 0 bytes/workgroup (compile time only)
; SGPRBlocks: 0
; VGPRBlocks: 1
; NumSGPRsForWavesPerEU: 36
; NumVGPRsForWavesPerEU: 30
; NamedBarCnt: 0
; Occupancy: 16
; WaveLimiterHint : 0
; COMPUTE_PGM_RSRC2:SCRATCH_EN: 0
; COMPUTE_PGM_RSRC2:USER_SGPR: 2
; COMPUTE_PGM_RSRC2:TRAP_HANDLER: 0
; COMPUTE_PGM_RSRC2:TGID_X_EN: 1
; COMPUTE_PGM_RSRC2:TGID_Y_EN: 0
; COMPUTE_PGM_RSRC2:TGID_Z_EN: 0
; COMPUTE_PGM_RSRC2:TIDIG_COMP_CNT: 0
	.text
	.protected	_Z18k_cube_select_fouriiiPKiPi ; -- Begin function _Z18k_cube_select_fouriiiPKiPi
	.globl	_Z18k_cube_select_fouriiiPKiPi
	.p2align	8
	.type	_Z18k_cube_select_fouriiiPKiPi,@function
_Z18k_cube_select_fouriiiPKiPi:         ; @_Z18k_cube_select_fouriiiPKiPi
; %bb.0:
	s_load_b64 s[34:35], s[0:1], 0x4
	s_mov_b32 s2, exec_lo
	s_wait_kmcnt 0x0
	v_cmpx_gt_i32_e64 s34, v0
	s_cbranch_execz .LBB2_21
; %bb.1:
	s_clause 0x1
	s_load_b128 s[4:7], s[0:1], 0x10
	s_load_b32 s8, s[0:1], 0x2c
	s_bfe_u32 s2, ttmp6, 0x4000c
	s_wait_xcnt 0x0
	s_and_b32 s0, ttmp6, 15
	s_add_co_i32 s2, s2, 1
	v_dual_mov_b32 v43, 0 :: v_dual_lshlrev_b32 v42, 5, v0
	s_mul_i32 s1, ttmp9, s2
	s_getreg_b32 s2, hwreg(HW_REG_IB_STS2, 6, 4)
	s_add_co_i32 s0, s0, s1
	s_cmp_eq_u32 s2, 0
	v_mov_b64_e32 v[44:45], v[42:43]
	s_cselect_b32 s0, ttmp9, s0
	s_mov_b32 s69, 0
	s_mul_i32 s1, s34, s0
	s_mov_b32 s36, s35
	s_mul_i32 s0, s1, 3
	s_lshl_b32 s2, s1, 5
	s_ashr_i32 s1, s0, 31
	s_ashr_i32 s3, s2, 31
	s_lshl_b64 s[0:1], s[0:1], 2
	s_lshl_b64 s[2:3], s[2:3], 2
	s_wait_kmcnt 0x0
	s_and_b32 s33, s8, 0xffff
	s_add_nc_u64 s[70:71], s[4:5], s[0:1]
	s_add_nc_u64 s[72:73], s[6:7], s[2:3]
	s_mov_b32 s37, s35
	s_mov_b32 s38, s35
	;; [unrolled: 1-line block ×31, first 2 shown]
	s_lshl_b32 s74, s33, 5
	s_mov_b32 s75, s69
	s_mov_b32 s78, 0
	s_branch .LBB2_3
.LBB2_2:                                ;   in Loop: Header=BB2_3 Depth=1
	v_add_nc_u32_e32 v0, s33, v0
	v_add_nc_u64_e32 v[44:45], s[74:75], v[44:45]
	s_delay_alu instid0(VALU_DEP_2) | instskip(SKIP_1) | instid1(SALU_CYCLE_1)
	v_cmp_le_i32_e32 vcc_lo, s34, v0
	s_or_b32 s78, vcc_lo, s78
	s_and_not1_b32 exec_lo, exec_lo, s78
	s_cbranch_execz .LBB2_21
.LBB2_3:                                ; =>This Loop Header: Depth=1
                                        ;     Child Loop BB2_8 Depth 2
                                        ;       Child Loop BB2_19 Depth 3
	v_lshl_add_u32 v2, v0, 1, v0
	v_mov_b64_e32 v[4:5], s[36:37]
	v_mov_b64_e32 v[6:7], s[38:39]
	;; [unrolled: 1-line block ×4, first 2 shown]
	v_dual_ashrrev_i32 v3, 31, v2 :: v_dual_lshlrev_b32 v46, 5, v0
	v_mov_b64_e32 v[12:13], s[44:45]
	v_mov_b64_e32 v[14:15], s[46:47]
	v_mov_b64_e32 v[16:17], s[48:49]
	s_delay_alu instid0(VALU_DEP_4)
	v_lshl_add_u64 v[2:3], v[2:3], 2, s[70:71]
	v_dual_ashrrev_i32 v47, 31, v46 :: v_dual_mov_b32 v1, v0
	v_mov_b64_e32 v[18:19], s[50:51]
	v_mov_b64_e32 v[20:21], s[52:53]
	s_wait_loadcnt 0x0
	global_load_b96 v[36:38], v[2:3], off
	v_mov_b64_e32 v[22:23], s[54:55]
	v_mov_b64_e32 v[24:25], s[56:57]
	;; [unrolled: 1-line block ×7, first 2 shown]
	v_lshl_add_u64 v[40:41], v[46:47], 2, s[72:73]
	s_wait_xcnt 0x0
	v_dual_mov_b32 v2, v0 :: v_dual_mov_b32 v3, v0
	s_mov_b32 s79, s69
	s_clause 0x7
	global_store_b128 v[40:41], v[0:3], off
	global_store_b128 v[40:41], v[0:3], off offset:16
	global_store_b128 v[40:41], v[0:3], off offset:32
	;; [unrolled: 1-line block ×7, first 2 shown]
	s_branch .LBB2_8
.LBB2_4:                                ;   in Loop: Header=BB2_8 Depth=2
	s_or_b32 exec_lo, exec_lo, s82
	v_cmp_eq_u32_e32 vcc_lo, 31, v40
	v_or3_b32 v2, v2, v46, v3
	v_dual_mov_b32 v3, s79 :: v_dual_cndmask_b32 v35, v35, v1, vcc_lo
	v_cmp_eq_u32_e32 vcc_lo, 30, v40
	global_store_b32 v2, v3, s[72:73] scale_offset
	v_cndmask_b32_e32 v34, v34, v1, vcc_lo
	v_cmp_eq_u32_e32 vcc_lo, 29, v40
	v_cndmask_b32_e32 v33, v33, v1, vcc_lo
	v_cmp_eq_u32_e32 vcc_lo, 28, v40
	;; [unrolled: 2-line block ×30, first 2 shown]
	v_cndmask_b32_e32 v4, v4, v1, vcc_lo
.LBB2_5:                                ;   in Loop: Header=BB2_8 Depth=2
	s_wait_xcnt 0x0
	s_or_b32 exec_lo, exec_lo, s81
.LBB2_6:                                ;   in Loop: Header=BB2_8 Depth=2
	s_delay_alu instid0(SALU_CYCLE_1)
	s_or_b32 exec_lo, exec_lo, s68
.LBB2_7:                                ;   in Loop: Header=BB2_8 Depth=2
	s_delay_alu instid0(SALU_CYCLE_1) | instskip(SKIP_1) | instid1(SALU_CYCLE_1)
	s_or_b32 exec_lo, exec_lo, s80
	s_add_co_i32 s79, s79, 1
	s_cmp_eq_u32 s79, s34
	s_cbranch_scc1 .LBB2_2
.LBB2_8:                                ;   Parent Loop BB2_3 Depth=1
                                        ; =>  This Loop Header: Depth=2
                                        ;       Child Loop BB2_19 Depth 3
	s_mov_b32 s80, exec_lo
	s_wait_xcnt 0x0
	v_cmpx_ne_u32_e64 s79, v0
	s_cbranch_execz .LBB2_7
; %bb.9:                                ;   in Loop: Header=BB2_8 Depth=2
	s_mul_i32 s68, s79, 3
	s_delay_alu instid0(SALU_CYCLE_1)
	s_lshl_b64 s[0:1], s[68:69], 2
	s_mov_b32 s68, exec_lo
	s_add_nc_u64 s[0:1], s[70:71], s[0:1]
	global_load_b96 v[40:42], v43, s[0:1]
	s_wait_loadcnt 0x0
	v_dual_sub_nc_u32 v1, v36, v40 :: v_dual_sub_nc_u32 v2, v37, v41
	s_delay_alu instid0(VALU_DEP_1) | instskip(NEXT) | instid1(VALU_DEP_1)
	v_mul_lo_u32 v1, v1, v1
	v_mad_u32 v1, v2, v2, v1
	v_sub_nc_u32_e32 v2, v38, v42
	s_delay_alu instid0(VALU_DEP_1) | instskip(SKIP_1) | instid1(VALU_DEP_1)
	v_mad_u32 v1, v2, v2, v1
	s_wait_xcnt 0x0
	v_cmpx_ge_i32_e64 s35, v1
	s_cbranch_execz .LBB2_6
; %bb.10:                               ;   in Loop: Header=BB2_8 Depth=2
	v_cmp_gt_i32_e32 vcc_lo, v40, v36
	s_mov_b32 s1, -1
	v_cndmask_b32_e64 v39, 0, 16, vcc_lo
	v_cmp_gt_i32_e32 vcc_lo, v41, v37
	v_cndmask_b32_e64 v47, 0, 8, vcc_lo
	v_cmp_lt_i32_e32 vcc_lo, v38, v42
	v_cndmask_b32_e64 v42, 0, 4, vcc_lo
	s_delay_alu instid0(VALU_DEP_1) | instskip(NEXT) | instid1(VALU_DEP_1)
	v_or3_b32 v2, v47, v39, v42
	v_cmp_eq_u32_e32 vcc_lo, 1, v2
	v_cndmask_b32_e32 v3, v4, v5, vcc_lo
	v_cmp_eq_u32_e32 vcc_lo, 2, v2
	s_delay_alu instid0(VALU_DEP_2) | instskip(SKIP_1) | instid1(VALU_DEP_2)
	v_cndmask_b32_e32 v3, v3, v6, vcc_lo
	v_cmp_eq_u32_e32 vcc_lo, 3, v2
	v_cndmask_b32_e32 v3, v3, v7, vcc_lo
	v_cmp_eq_u32_e32 vcc_lo, 4, v2
	s_delay_alu instid0(VALU_DEP_2) | instskip(SKIP_1) | instid1(VALU_DEP_2)
	v_cndmask_b32_e32 v3, v3, v8, vcc_lo
	;; [unrolled: 5-line block ×15, first 2 shown]
	v_cmp_eq_u32_e32 vcc_lo, 31, v2
	v_dual_cndmask_b32 v40, v3, v35 :: v_dual_mov_b32 v3, 0
	s_delay_alu instid0(VALU_DEP_1) | instskip(SKIP_1) | instid1(VALU_DEP_3)
	v_cmp_lt_i32_e32 vcc_lo, v1, v40
	v_cmp_ge_i32_e64 s0, v1, v40
	v_mov_b64_e32 v[40:41], v[2:3]
	s_and_saveexec_b32 s2, s0
	s_cbranch_execz .LBB2_16
; %bb.11:                               ;   in Loop: Header=BB2_8 Depth=2
	v_or_b32_e32 v40, 1, v2
	s_mov_b32 s4, -1
	s_mov_b32 s3, exec_lo
	s_delay_alu instid0(VALU_DEP_1) | instskip(NEXT) | instid1(VALU_DEP_1)
	v_cmp_eq_u32_e64 s0, 1, v40
	v_cndmask_b32_e64 v3, v4, v5, s0
	v_cmp_eq_u32_e64 s0, 2, v40
	s_delay_alu instid0(VALU_DEP_1) | instskip(SKIP_1) | instid1(VALU_DEP_1)
	v_cndmask_b32_e64 v3, v3, v6, s0
	v_cmp_eq_u32_e64 s0, 3, v40
	v_cndmask_b32_e64 v3, v3, v7, s0
	v_cmp_eq_u32_e64 s0, 4, v40
	s_delay_alu instid0(VALU_DEP_1) | instskip(SKIP_1) | instid1(VALU_DEP_1)
	v_cndmask_b32_e64 v3, v3, v8, s0
	;; [unrolled: 5-line block ×15, first 2 shown]
	v_cmp_eq_u32_e64 s0, 31, v40
	v_dual_cndmask_b32 v41, v3, v35, s0 :: v_dual_mov_b32 v3, 1
	s_delay_alu instid0(VALU_DEP_1)
	v_cmp_lt_i32_e64 s0, v1, v41
	v_cmpx_ge_i32_e64 v1, v41
	s_cbranch_execz .LBB2_15
; %bb.12:                               ;   in Loop: Header=BB2_8 Depth=2
	v_or_b32_e32 v40, 2, v2
	s_mov_b32 s6, -1
	s_mov_b32 s5, exec_lo
	s_delay_alu instid0(VALU_DEP_1) | instskip(NEXT) | instid1(VALU_DEP_1)
	v_cmp_eq_u32_e64 s1, 1, v40
	v_cndmask_b32_e64 v3, v4, v5, s1
	v_cmp_eq_u32_e64 s1, 2, v40
	s_delay_alu instid0(VALU_DEP_1) | instskip(SKIP_1) | instid1(VALU_DEP_1)
	v_cndmask_b32_e64 v3, v3, v6, s1
	v_cmp_eq_u32_e64 s1, 3, v40
	v_cndmask_b32_e64 v3, v3, v7, s1
	v_cmp_eq_u32_e64 s1, 4, v40
	s_delay_alu instid0(VALU_DEP_1) | instskip(SKIP_1) | instid1(VALU_DEP_1)
	v_cndmask_b32_e64 v3, v3, v8, s1
	;; [unrolled: 5-line block ×15, first 2 shown]
	v_cmp_eq_u32_e64 s1, 31, v40
	v_dual_cndmask_b32 v41, v3, v35, s1 :: v_dual_mov_b32 v3, 2
	s_delay_alu instid0(VALU_DEP_1)
	v_cmp_lt_i32_e64 s4, v1, v41
	v_cmpx_ge_i32_e64 v1, v41
	s_xor_b32 s5, exec_lo, s5
	s_cbranch_execz .LBB2_14
; %bb.13:                               ;   in Loop: Header=BB2_8 Depth=2
	v_or_b32_e32 v40, 3, v2
	s_and_not1_b32 s4, s4, exec_lo
	s_xor_b32 s6, exec_lo, -1
	s_delay_alu instid0(VALU_DEP_1) | instskip(NEXT) | instid1(VALU_DEP_1)
	v_cmp_eq_u32_e64 s1, 1, v40
	v_cndmask_b32_e64 v3, v4, v5, s1
	v_cmp_eq_u32_e64 s1, 2, v40
	s_delay_alu instid0(VALU_DEP_1) | instskip(SKIP_1) | instid1(VALU_DEP_1)
	v_cndmask_b32_e64 v3, v3, v6, s1
	v_cmp_eq_u32_e64 s1, 3, v40
	v_cndmask_b32_e64 v3, v3, v7, s1
	v_cmp_eq_u32_e64 s1, 4, v40
	s_delay_alu instid0(VALU_DEP_1) | instskip(SKIP_1) | instid1(VALU_DEP_1)
	v_cndmask_b32_e64 v3, v3, v8, s1
	;; [unrolled: 5-line block ×15, first 2 shown]
	v_cmp_eq_u32_e64 s1, 31, v40
	v_cndmask_b32_e64 v3, v3, v35, s1
	s_delay_alu instid0(VALU_DEP_1) | instskip(SKIP_2) | instid1(SALU_CYCLE_1)
	v_cmp_lt_i32_e64 s1, v1, v3
	v_mov_b32_e32 v3, 3
	s_and_b32 s1, s1, exec_lo
	s_or_b32 s4, s4, s1
.LBB2_14:                               ;   in Loop: Header=BB2_8 Depth=2
	s_or_b32 exec_lo, exec_lo, s5
	s_delay_alu instid0(SALU_CYCLE_1)
	s_and_not1_b32 s0, s0, exec_lo
	s_and_b32 s1, s4, exec_lo
	s_or_not1_b32 s4, s6, exec_lo
	s_or_b32 s0, s0, s1
.LBB2_15:                               ;   in Loop: Header=BB2_8 Depth=2
	s_or_b32 exec_lo, exec_lo, s3
	s_delay_alu instid0(SALU_CYCLE_1)
	s_and_not1_b32 s3, vcc_lo, exec_lo
	s_and_b32 s0, s0, exec_lo
	s_or_not1_b32 s1, s4, exec_lo
	s_or_b32 vcc_lo, s3, s0
.LBB2_16:                               ;   in Loop: Header=BB2_8 Depth=2
	s_or_b32 exec_lo, exec_lo, s2
	s_and_saveexec_b32 s0, vcc_lo
	s_delay_alu instid0(SALU_CYCLE_1)
	s_xor_b32 s81, exec_lo, s0
	s_cbranch_execz .LBB2_5
; %bb.17:                               ;   in Loop: Header=BB2_8 Depth=2
	s_and_saveexec_b32 s82, s1
	s_cbranch_execz .LBB2_4
; %bb.18:                               ;   in Loop: Header=BB2_8 Depth=2
	v_add3_u32 v42, v47, v39, v42
	s_mov_b64 s[76:77], 2
	s_mov_b32 s83, 0
	s_delay_alu instid0(VALU_DEP_1)
	v_add_nc_u64_e32 v[48:49], 3, v[42:43]
.LBB2_19:                               ;   Parent Loop BB2_3 Depth=1
                                        ;     Parent Loop BB2_8 Depth=2
                                        ; =>    This Inner Loop Header: Depth=3
	s_delay_alu instid0(VALU_DEP_1)
	v_add_nc_u64_e32 v[50:51], -1, v[48:49]
	v_cmp_eq_u32_e64 s1, 30, v48
	v_cmp_eq_u32_e64 s2, 29, v48
	;; [unrolled: 1-line block ×11, first 2 shown]
	v_cndmask_b32_e64 v42, v4, v5, s0
	v_cmp_eq_u32_e64 s0, 2, v50
	v_add_nc_u32_e32 v39, v44, v48
	v_cmp_eq_u32_e64 s11, 20, v48
	v_cmp_eq_u32_e64 s12, 19, v48
	;; [unrolled: 1-line block ×3, first 2 shown]
	v_cndmask_b32_e64 v42, v42, v6, s0
	global_load_b32 v41, v39, s[72:73] offset:-4 scale_offset
	v_cmp_eq_u32_e64 s0, 3, v50
	v_cmp_eq_u32_e64 s14, 17, v48
	v_cmp_eq_u32_e64 s15, 16, v48
	v_cmp_eq_u32_e64 s16, 15, v48
	v_cmp_eq_u32_e64 s17, 14, v48
	v_cndmask_b32_e64 v42, v42, v7, s0
	v_cmp_eq_u32_e64 s0, 4, v50
	v_cmp_eq_u32_e64 s18, 13, v48
	v_cmp_eq_u32_e64 s19, 12, v48
	v_cmp_eq_u32_e64 s20, 11, v48
	v_cmp_eq_u32_e64 s21, 10, v48
	v_cndmask_b32_e64 v42, v42, v8, s0
	;; [unrolled: 6-line block ×4, first 2 shown]
	v_cmp_eq_u32_e64 s0, 7, v50
	v_cmp_eq_u32_e64 s30, 1, v48
	;; [unrolled: 1-line block ×3, first 2 shown]
	v_cmp_le_u32_e32 vcc_lo, s76, v3
	s_add_nc_u64 s[76:77], s[76:77], -1
	v_cndmask_b32_e64 v42, v42, v11, s0
	v_cmp_eq_u32_e64 s0, 8, v50
	s_or_b32 s83, vcc_lo, s83
	v_cndmask_b32_e64 v42, v42, v12, s0
	v_cmp_eq_u32_e64 s0, 9, v50
	s_delay_alu instid0(VALU_DEP_1) | instskip(SKIP_1) | instid1(VALU_DEP_1)
	v_cndmask_b32_e64 v42, v42, v13, s0
	v_cmp_eq_u32_e64 s0, 10, v50
	v_cndmask_b32_e64 v42, v42, v14, s0
	v_cmp_eq_u32_e64 s0, 11, v50
	s_delay_alu instid0(VALU_DEP_1) | instskip(SKIP_1) | instid1(VALU_DEP_1)
	v_cndmask_b32_e64 v42, v42, v15, s0
	v_cmp_eq_u32_e64 s0, 12, v50
	;; [unrolled: 5-line block ×11, first 2 shown]
	v_cndmask_b32_e64 v42, v42, v34, s0
	v_cmp_eq_u32_e64 s0, 31, v50
	s_delay_alu instid0(VALU_DEP_1) | instskip(SKIP_2) | instid1(VALU_DEP_2)
	v_cndmask_b32_e64 v42, v42, v35, s0
	v_cmp_eq_u32_e64 s0, 31, v48
	v_mov_b64_e32 v[48:49], v[50:51]
	v_dual_cndmask_b32 v34, v34, v42, s1 :: v_dual_cndmask_b32 v35, v35, v42, s0
	v_dual_cndmask_b32 v33, v33, v42, s2 :: v_dual_cndmask_b32 v32, v32, v42, s3
	;; [unrolled: 1-line block ×16, first 2 shown]
	s_wait_loadcnt 0x0
	global_store_b32 v39, v41, s[72:73] scale_offset
	s_wait_xcnt 0x0
	s_and_not1_b32 exec_lo, exec_lo, s83
	s_cbranch_execnz .LBB2_19
; %bb.20:                               ;   in Loop: Header=BB2_8 Depth=2
	s_or_b32 exec_lo, exec_lo, s83
	s_branch .LBB2_4
.LBB2_21:
	s_endpgm
	.section	.rodata,"a",@progbits
	.p2align	6, 0x0
	.amdhsa_kernel _Z18k_cube_select_fouriiiPKiPi
		.amdhsa_group_segment_fixed_size 0
		.amdhsa_private_segment_fixed_size 0
		.amdhsa_kernarg_size 288
		.amdhsa_user_sgpr_count 2
		.amdhsa_user_sgpr_dispatch_ptr 0
		.amdhsa_user_sgpr_queue_ptr 0
		.amdhsa_user_sgpr_kernarg_segment_ptr 1
		.amdhsa_user_sgpr_dispatch_id 0
		.amdhsa_user_sgpr_kernarg_preload_length 0
		.amdhsa_user_sgpr_kernarg_preload_offset 0
		.amdhsa_user_sgpr_private_segment_size 0
		.amdhsa_wavefront_size32 1
		.amdhsa_uses_dynamic_stack 0
		.amdhsa_enable_private_segment 0
		.amdhsa_system_sgpr_workgroup_id_x 1
		.amdhsa_system_sgpr_workgroup_id_y 0
		.amdhsa_system_sgpr_workgroup_id_z 0
		.amdhsa_system_sgpr_workgroup_info 0
		.amdhsa_system_vgpr_workitem_id 0
		.amdhsa_next_free_vgpr 52
		.amdhsa_next_free_sgpr 84
		.amdhsa_named_barrier_count 0
		.amdhsa_reserve_vcc 1
		.amdhsa_float_round_mode_32 0
		.amdhsa_float_round_mode_16_64 0
		.amdhsa_float_denorm_mode_32 3
		.amdhsa_float_denorm_mode_16_64 3
		.amdhsa_fp16_overflow 0
		.amdhsa_memory_ordered 1
		.amdhsa_forward_progress 1
		.amdhsa_inst_pref_size 35
		.amdhsa_round_robin_scheduling 0
		.amdhsa_exception_fp_ieee_invalid_op 0
		.amdhsa_exception_fp_denorm_src 0
		.amdhsa_exception_fp_ieee_div_zero 0
		.amdhsa_exception_fp_ieee_overflow 0
		.amdhsa_exception_fp_ieee_underflow 0
		.amdhsa_exception_fp_ieee_inexact 0
		.amdhsa_exception_int_div_zero 0
	.end_amdhsa_kernel
	.text
.Lfunc_end2:
	.size	_Z18k_cube_select_fouriiiPKiPi, .Lfunc_end2-_Z18k_cube_select_fouriiiPKiPi
                                        ; -- End function
	.set _Z18k_cube_select_fouriiiPKiPi.num_vgpr, 52
	.set _Z18k_cube_select_fouriiiPKiPi.num_agpr, 0
	.set _Z18k_cube_select_fouriiiPKiPi.numbered_sgpr, 84
	.set _Z18k_cube_select_fouriiiPKiPi.num_named_barrier, 0
	.set _Z18k_cube_select_fouriiiPKiPi.private_seg_size, 0
	.set _Z18k_cube_select_fouriiiPKiPi.uses_vcc, 1
	.set _Z18k_cube_select_fouriiiPKiPi.uses_flat_scratch, 0
	.set _Z18k_cube_select_fouriiiPKiPi.has_dyn_sized_stack, 0
	.set _Z18k_cube_select_fouriiiPKiPi.has_recursion, 0
	.set _Z18k_cube_select_fouriiiPKiPi.has_indirect_call, 0
	.section	.AMDGPU.csdata,"",@progbits
; Kernel info:
; codeLenInByte = 4384
; TotalNumSgprs: 86
; NumVgprs: 52
; ScratchSize: 0
; MemoryBound: 0
; FloatMode: 240
; IeeeMode: 1
; LDSByteSize: 0 bytes/workgroup (compile time only)
; SGPRBlocks: 0
; VGPRBlocks: 3
; NumSGPRsForWavesPerEU: 86
; NumVGPRsForWavesPerEU: 52
; NamedBarCnt: 0
; Occupancy: 16
; WaveLimiterHint : 0
; COMPUTE_PGM_RSRC2:SCRATCH_EN: 0
; COMPUTE_PGM_RSRC2:USER_SGPR: 2
; COMPUTE_PGM_RSRC2:TRAP_HANDLER: 0
; COMPUTE_PGM_RSRC2:TGID_X_EN: 1
; COMPUTE_PGM_RSRC2:TGID_Y_EN: 0
; COMPUTE_PGM_RSRC2:TGID_Z_EN: 0
; COMPUTE_PGM_RSRC2:TIDIG_COMP_CNT: 0
	.text
	.p2alignl 7, 3214868480
	.fill 96, 4, 3214868480
	.section	.AMDGPU.gpr_maximums,"",@progbits
	.set amdgpu.max_num_vgpr, 0
	.set amdgpu.max_num_agpr, 0
	.set amdgpu.max_num_sgpr, 0
	.text
	.type	__hip_cuid_18962637549edd0b,@object ; @__hip_cuid_18962637549edd0b
	.section	.bss,"aw",@nobits
	.globl	__hip_cuid_18962637549edd0b
__hip_cuid_18962637549edd0b:
	.byte	0                               ; 0x0
	.size	__hip_cuid_18962637549edd0b, 1

	.ident	"AMD clang version 22.0.0git (https://github.com/RadeonOpenCompute/llvm-project roc-7.2.4 26084 f58b06dce1f9c15707c5f808fd002e18c2accf7e)"
	.section	".note.GNU-stack","",@progbits
	.addrsig
	.addrsig_sym __hip_cuid_18962637549edd0b
	.amdgpu_metadata
---
amdhsa.kernels:
  - .args:
      - .offset:         0
        .size:           4
        .value_kind:     by_value
      - .offset:         4
        .size:           4
        .value_kind:     by_value
      - .offset:         8
        .size:           4
        .value_kind:     by_value
      - .address_space:  global
        .offset:         16
        .size:           8
        .value_kind:     global_buffer
      - .address_space:  global
        .offset:         24
        .size:           8
        .value_kind:     global_buffer
      - .offset:         32
        .size:           4
        .value_kind:     hidden_block_count_x
      - .offset:         36
        .size:           4
        .value_kind:     hidden_block_count_y
      - .offset:         40
        .size:           4
        .value_kind:     hidden_block_count_z
      - .offset:         44
        .size:           2
        .value_kind:     hidden_group_size_x
      - .offset:         46
        .size:           2
        .value_kind:     hidden_group_size_y
      - .offset:         48
        .size:           2
        .value_kind:     hidden_group_size_z
      - .offset:         50
        .size:           2
        .value_kind:     hidden_remainder_x
      - .offset:         52
        .size:           2
        .value_kind:     hidden_remainder_y
      - .offset:         54
        .size:           2
        .value_kind:     hidden_remainder_z
      - .offset:         72
        .size:           8
        .value_kind:     hidden_global_offset_x
      - .offset:         80
        .size:           8
        .value_kind:     hidden_global_offset_y
      - .offset:         88
        .size:           8
        .value_kind:     hidden_global_offset_z
      - .offset:         96
        .size:           2
        .value_kind:     hidden_grid_dims
    .group_segment_fixed_size: 0
    .kernarg_segment_align: 8
    .kernarg_segment_size: 288
    .language:       OpenCL C
    .language_version:
      - 2
      - 0
    .max_flat_workgroup_size: 1024
    .name:           _Z13k_cube_selectiiiPKiPi
    .private_segment_fixed_size: 0
    .sgpr_count:     24
    .sgpr_spill_count: 0
    .symbol:         _Z13k_cube_selectiiiPKiPi.kd
    .uniform_work_group_size: 1
    .uses_dynamic_stack: false
    .vgpr_count:     22
    .vgpr_spill_count: 0
    .wavefront_size: 32
  - .args:
      - .offset:         0
        .size:           4
        .value_kind:     by_value
      - .offset:         4
        .size:           4
        .value_kind:     by_value
      - .offset:         8
        .size:           4
        .value_kind:     by_value
      - .address_space:  global
        .offset:         16
        .size:           8
        .value_kind:     global_buffer
      - .address_space:  global
        .offset:         24
        .size:           8
        .value_kind:     global_buffer
      - .offset:         32
        .size:           4
        .value_kind:     hidden_block_count_x
      - .offset:         36
        .size:           4
        .value_kind:     hidden_block_count_y
      - .offset:         40
        .size:           4
        .value_kind:     hidden_block_count_z
      - .offset:         44
        .size:           2
        .value_kind:     hidden_group_size_x
      - .offset:         46
        .size:           2
        .value_kind:     hidden_group_size_y
      - .offset:         48
        .size:           2
        .value_kind:     hidden_group_size_z
      - .offset:         50
        .size:           2
        .value_kind:     hidden_remainder_x
      - .offset:         52
        .size:           2
        .value_kind:     hidden_remainder_y
      - .offset:         54
        .size:           2
        .value_kind:     hidden_remainder_z
      - .offset:         72
        .size:           8
        .value_kind:     hidden_global_offset_x
      - .offset:         80
        .size:           8
        .value_kind:     hidden_global_offset_y
      - .offset:         88
        .size:           8
        .value_kind:     hidden_global_offset_z
      - .offset:         96
        .size:           2
        .value_kind:     hidden_grid_dims
    .group_segment_fixed_size: 0
    .kernarg_segment_align: 8
    .kernarg_segment_size: 288
    .language:       OpenCL C
    .language_version:
      - 2
      - 0
    .max_flat_workgroup_size: 1024
    .name:           _Z17k_cube_select_twoiiiPKiPi
    .private_segment_fixed_size: 0
    .sgpr_count:     36
    .sgpr_spill_count: 0
    .symbol:         _Z17k_cube_select_twoiiiPKiPi.kd
    .uniform_work_group_size: 1
    .uses_dynamic_stack: false
    .vgpr_count:     30
    .vgpr_spill_count: 0
    .wavefront_size: 32
  - .args:
      - .offset:         0
        .size:           4
        .value_kind:     by_value
      - .offset:         4
        .size:           4
        .value_kind:     by_value
      - .offset:         8
        .size:           4
        .value_kind:     by_value
      - .address_space:  global
        .offset:         16
        .size:           8
        .value_kind:     global_buffer
      - .address_space:  global
        .offset:         24
        .size:           8
        .value_kind:     global_buffer
      - .offset:         32
        .size:           4
        .value_kind:     hidden_block_count_x
      - .offset:         36
        .size:           4
        .value_kind:     hidden_block_count_y
      - .offset:         40
        .size:           4
        .value_kind:     hidden_block_count_z
      - .offset:         44
        .size:           2
        .value_kind:     hidden_group_size_x
      - .offset:         46
        .size:           2
        .value_kind:     hidden_group_size_y
      - .offset:         48
        .size:           2
        .value_kind:     hidden_group_size_z
      - .offset:         50
        .size:           2
        .value_kind:     hidden_remainder_x
      - .offset:         52
        .size:           2
        .value_kind:     hidden_remainder_y
      - .offset:         54
        .size:           2
        .value_kind:     hidden_remainder_z
      - .offset:         72
        .size:           8
        .value_kind:     hidden_global_offset_x
      - .offset:         80
        .size:           8
        .value_kind:     hidden_global_offset_y
      - .offset:         88
        .size:           8
        .value_kind:     hidden_global_offset_z
      - .offset:         96
        .size:           2
        .value_kind:     hidden_grid_dims
    .group_segment_fixed_size: 0
    .kernarg_segment_align: 8
    .kernarg_segment_size: 288
    .language:       OpenCL C
    .language_version:
      - 2
      - 0
    .max_flat_workgroup_size: 1024
    .name:           _Z18k_cube_select_fouriiiPKiPi
    .private_segment_fixed_size: 0
    .sgpr_count:     86
    .sgpr_spill_count: 0
    .symbol:         _Z18k_cube_select_fouriiiPKiPi.kd
    .uniform_work_group_size: 1
    .uses_dynamic_stack: false
    .vgpr_count:     52
    .vgpr_spill_count: 0
    .wavefront_size: 32
amdhsa.target:   amdgcn-amd-amdhsa--gfx1250
amdhsa.version:
  - 1
  - 2
...

	.end_amdgpu_metadata
